;; amdgpu-corpus repo=llvm/llvm-project kind=harvested arch=n/a opt=n/a
// NOTE: Assertions have been autogenerated by utils/update_mc_test_checks.py UTC_ARGS: --unique --sort --version 5
// RUN: not llvm-mc -triple=amdgcn -mcpu=gfx1200 -mattr=+real-true16 -filetype=null %s 2>&1 | FileCheck --check-prefix=GFX12 --implicit-check-not=error %s

v_add_f16_dpp v255.h, v1.h, v2.h dpp8:[7,6,5,4,3,2,1,0]
// GFX12: :[[@LINE-1]]:15: error: invalid operand for instruction

v_add_f16_dpp v255.h, v1.h, v2.h quad_perm:[3,2,1,0]
// GFX12: :[[@LINE-1]]:15: error: invalid operand for instruction

v_add_f16_dpp v255.l, v1.l, v2.l dpp8:[7,6,5,4,3,2,1,0]
// GFX12: :[[@LINE-1]]:15: error: invalid operand for instruction

v_add_f16_dpp v255.l, v1.l, v2.l quad_perm:[3,2,1,0]
// GFX12: :[[@LINE-1]]:15: error: invalid operand for instruction

v_add_f16_dpp v5.h, v1.h, v255.h dpp8:[7,6,5,4,3,2,1,0]
// GFX12: :[[@LINE-1]]:27: error: invalid operand for instruction

v_add_f16_dpp v5.h, v1.h, v255.h quad_perm:[3,2,1,0]
// GFX12: :[[@LINE-1]]:27: error: invalid operand for instruction

v_add_f16_dpp v5.h, v255.h, v2.h dpp8:[7,6,5,4,3,2,1,0]
// GFX12: :[[@LINE-1]]:21: error: invalid operand for instruction

v_add_f16_dpp v5.h, v255.h, v2.h quad_perm:[3,2,1,0]
// GFX12: :[[@LINE-1]]:21: error: invalid operand for instruction

v_add_f16_dpp v5.l, v1.l, v255.l dpp8:[7,6,5,4,3,2,1,0]
// GFX12: :[[@LINE-1]]:27: error: invalid operand for instruction

v_add_f16_dpp v5.l, v1.l, v255.l quad_perm:[3,2,1,0]
// GFX12: :[[@LINE-1]]:27: error: invalid operand for instruction

v_add_f16_dpp v5.l, v255.l, v2.l dpp8:[7,6,5,4,3,2,1,0]
// GFX12: :[[@LINE-1]]:21: error: invalid operand for instruction

v_add_f16_dpp v5.l, v255.l, v2.l quad_perm:[3,2,1,0]
// GFX12: :[[@LINE-1]]:21: error: invalid operand for instruction

v_add_f16_e32 v255.h, v1.h, v2.h
// GFX12: :[[@LINE-1]]:15: error: invalid operand for instruction

v_add_f16_e32 v255.l, v1.l, v2.l
// GFX12: :[[@LINE-1]]:15: error: invalid operand for instruction

v_add_f16_e32 v5.h, v1.h, v255.h
// GFX12: :[[@LINE-1]]:27: error: invalid operand for instruction

v_add_f16_e32 v5.h, v255.h, v2.h
// GFX12: :[[@LINE-1]]:21: error: invalid operand for instruction

v_add_f16_e32 v5.l, v1.l, v255.l
// GFX12: :[[@LINE-1]]:27: error: invalid operand for instruction

v_add_f16_e32 v5.l, v255.l, v2.l
// GFX12: :[[@LINE-1]]:21: error: invalid operand for instruction

v_fmaak_f16_e32 v255.h, v1.h, v2.h, 0xfe0b
// GFX12: :[[@LINE-1]]:17: error: invalid operand for instruction

v_fmaak_f16_e32 v255.l, v1.l, v2.l, 0xfe0b
// GFX12: :[[@LINE-1]]:17: error: invalid operand for instruction

v_fmaak_f16_e32 v5.h, v1.h, v255.h, 0xfe0b
// GFX12: :[[@LINE-1]]:29: error: invalid operand for instruction

v_fmaak_f16_e32 v5.h, v255.h, v2.h, 0xfe0b
// GFX12: :[[@LINE-1]]:23: error: invalid operand for instruction

v_fmaak_f16_e32 v5.l, v1.l, v255.l, 0xfe0b
// GFX12: :[[@LINE-1]]:29: error: invalid operand for instruction

v_fmaak_f16_e32 v5.l, v255.l, v2.l, 0xfe0b
// GFX12: :[[@LINE-1]]:23: error: invalid operand for instruction

v_fmac_f16_dpp v255.h, v1.h, v2.h dpp8:[7,6,5,4,3,2,1,0]
// GFX12: :[[@LINE-1]]:16: error: invalid operand for instruction

v_fmac_f16_dpp v255.h, v1.h, v2.h quad_perm:[3,2,1,0]
// GFX12: :[[@LINE-1]]:16: error: invalid operand for instruction

v_fmac_f16_dpp v255.l, v1.l, v2.l dpp8:[7,6,5,4,3,2,1,0]
// GFX12: :[[@LINE-1]]:16: error: invalid operand for instruction

v_fmac_f16_dpp v255.l, v1.l, v2.l quad_perm:[3,2,1,0]
// GFX12: :[[@LINE-1]]:16: error: invalid operand for instruction

v_fmac_f16_dpp v5.h, v1.h, v255.h dpp8:[7,6,5,4,3,2,1,0]
// GFX12: :[[@LINE-1]]:28: error: invalid operand for instruction

v_fmac_f16_dpp v5.h, v1.h, v255.h quad_perm:[3,2,1,0]
// GFX12: :[[@LINE-1]]:28: error: invalid operand for instruction

v_fmac_f16_dpp v5.h, v255.h, v2.h dpp8:[7,6,5,4,3,2,1,0]
// GFX12: :[[@LINE-1]]:22: error: invalid operand for instruction

v_fmac_f16_dpp v5.h, v255.h, v2.h quad_perm:[3,2,1,0]
// GFX12: :[[@LINE-1]]:22: error: invalid operand for instruction

v_fmac_f16_dpp v5.l, v1.l, v255.l dpp8:[7,6,5,4,3,2,1,0]
// GFX12: :[[@LINE-1]]:28: error: invalid operand for instruction

v_fmac_f16_dpp v5.l, v1.l, v255.l quad_perm:[3,2,1,0]
// GFX12: :[[@LINE-1]]:28: error: invalid operand for instruction

v_fmac_f16_dpp v5.l, v255.l, v2.l dpp8:[7,6,5,4,3,2,1,0]
// GFX12: :[[@LINE-1]]:22: error: invalid operand for instruction

v_fmac_f16_dpp v5.l, v255.l, v2.l quad_perm:[3,2,1,0]
// GFX12: :[[@LINE-1]]:22: error: invalid operand for instruction

v_fmac_f16_e32 v255.h, v1.h, v2.h
// GFX12: :[[@LINE-1]]:16: error: invalid operand for instruction

v_fmac_f16_e32 v255.l, v1.l, v2.l
// GFX12: :[[@LINE-1]]:16: error: invalid operand for instruction

v_fmac_f16_e32 v5.h, v1.h, v255.h
// GFX12: :[[@LINE-1]]:28: error: invalid operand for instruction

v_fmac_f16_e32 v5.h, v255.h, v2.h
// GFX12: :[[@LINE-1]]:22: error: invalid operand for instruction

v_fmac_f16_e32 v5.l, v1.l, v255.l
// GFX12: :[[@LINE-1]]:28: error: invalid operand for instruction

v_fmac_f16_e32 v5.l, v255.l, v2.l
// GFX12: :[[@LINE-1]]:22: error: invalid operand for instruction

v_fmamk_f16_e32 v255.h, v1.h, 0xfe0b, v3.h
// GFX12: :[[@LINE-1]]:17: error: invalid operand for instruction

v_fmamk_f16_e32 v255.l, v1.l, 0xfe0b, v3.l
// GFX12: :[[@LINE-1]]:17: error: invalid operand for instruction

v_fmamk_f16_e32 v5.h, v1.h, 0xfe0b, v255.h
// GFX12: :[[@LINE-1]]:37: error: invalid operand for instruction

v_fmamk_f16_e32 v5.h, v255.h, 0xfe0b, v3.h
// GFX12: :[[@LINE-1]]:23: error: invalid operand for instruction

v_fmamk_f16_e32 v5.l, v1.l, 0xfe0b, v255.l
// GFX12: :[[@LINE-1]]:37: error: invalid operand for instruction

v_fmamk_f16_e32 v5.l, v255.l, 0xfe0b, v3.l
// GFX12: :[[@LINE-1]]:23: error: invalid operand for instruction

v_ldexp_f16 v5.h, v1.h, v255 dpp8:[7,6,5,4,3,2,1,0]
// GFX12: :[[@LINE-1]]:25: error: invalid operand for instruction

v_ldexp_f16 v5.h, v1.h, v255 quad_perm:[3,2,1,0]
// GFX12: :[[@LINE-1]]:25: error: invalid operand for instruction

v_ldexp_f16_dpp v255.h, v1.h, v2.h dpp8:[7,6,5,4,3,2,1,0]
// GFX12: :[[@LINE-1]]:17: error: invalid operand for instruction

v_ldexp_f16_dpp v255.h, v1.h, v2.h quad_perm:[3,2,1,0]
// GFX12: :[[@LINE-1]]:17: error: invalid operand for instruction

v_ldexp_f16_dpp v255.l, v1.l, v2.l dpp8:[7,6,5,4,3,2,1,0]
// GFX12: :[[@LINE-1]]:17: error: invalid operand for instruction

v_ldexp_f16_dpp v255.l, v1.l, v2.l quad_perm:[3,2,1,0]
// GFX12: :[[@LINE-1]]:17: error: invalid operand for instruction

v_ldexp_f16_dpp v5.h, v255.h, v2.h dpp8:[7,6,5,4,3,2,1,0]
// GFX12: :[[@LINE-1]]:23: error: invalid operand for instruction

v_ldexp_f16_dpp v5.h, v255.h, v2.h quad_perm:[3,2,1,0]
// GFX12: :[[@LINE-1]]:23: error: invalid operand for instruction

v_ldexp_f16_dpp v5.l, v255.l, v2.l dpp8:[7,6,5,4,3,2,1,0]
// GFX12: :[[@LINE-1]]:23: error: invalid operand for instruction

v_ldexp_f16_dpp v5.l, v255.l, v2.l quad_perm:[3,2,1,0]
// GFX12: :[[@LINE-1]]:23: error: invalid operand for instruction

v_ldexp_f16_e32 v255.h, v1.h, v2.h
// GFX12: :[[@LINE-1]]:17: error: invalid operand for instruction

v_ldexp_f16_e32 v255.l, v1.l, v2.l
// GFX12: :[[@LINE-1]]:17: error: invalid operand for instruction

v_ldexp_f16_e32 v5.h, v1.h, v255.h
// GFX12: :[[@LINE-1]]:29: error: invalid operand for instruction

v_ldexp_f16_e32 v5.h, v255.h, v2.h
// GFX12: :[[@LINE-1]]:23: error: invalid operand for instruction

v_ldexp_f16_e32 v5.l, v255.l, v2.l
// GFX12: :[[@LINE-1]]:23: error: invalid operand for instruction

v_max_num_f16_dpp v255.h, v1.h, v2.h dpp8:[7,6,5,4,3,2,1,0]
// GFX12: :[[@LINE-1]]:19: error: invalid operand for instruction

v_max_num_f16_dpp v255.h, v1.h, v2.h quad_perm:[3,2,1,0]
// GFX12: :[[@LINE-1]]:19: error: invalid operand for instruction

v_max_num_f16_dpp v255.l, v1.l, v2.l dpp8:[7,6,5,4,3,2,1,0]
// GFX12: :[[@LINE-1]]:19: error: invalid operand for instruction

v_max_num_f16_dpp v255.l, v1.l, v2.l quad_perm:[3,2,1,0]
// GFX12: :[[@LINE-1]]:19: error: invalid operand for instruction

v_max_num_f16_dpp v5.h, v1.h, v255.h dpp8:[7,6,5,4,3,2,1,0]
// GFX12: :[[@LINE-1]]:31: error: invalid operand for instruction

v_max_num_f16_dpp v5.h, v1.h, v255.h quad_perm:[3,2,1,0]
// GFX12: :[[@LINE-1]]:31: error: invalid operand for instruction

v_max_num_f16_dpp v5.h, v255.h, v2.h dpp8:[7,6,5,4,3,2,1,0]
// GFX12: :[[@LINE-1]]:25: error: invalid operand for instruction

v_max_num_f16_dpp v5.h, v255.h, v2.h quad_perm:[3,2,1,0]
// GFX12: :[[@LINE-1]]:25: error: invalid operand for instruction

v_max_num_f16_dpp v5.l, v1.l, v255.l dpp8:[7,6,5,4,3,2,1,0]
// GFX12: :[[@LINE-1]]:31: error: invalid operand for instruction

v_max_num_f16_dpp v5.l, v1.l, v255.l quad_perm:[3,2,1,0]
// GFX12: :[[@LINE-1]]:31: error: invalid operand for instruction

v_max_num_f16_dpp v5.l, v255.l, v2.l dpp8:[7,6,5,4,3,2,1,0]
// GFX12: :[[@LINE-1]]:25: error: invalid operand for instruction

v_max_num_f16_dpp v5.l, v255.l, v2.l quad_perm:[3,2,1,0]
// GFX12: :[[@LINE-1]]:25: error: invalid operand for instruction

v_max_num_f16_e32 v255.h, v1.h, v2.h
// GFX12: :[[@LINE-1]]:19: error: invalid operand for instruction

v_max_num_f16_e32 v255.l, v1.l, v2.l
// GFX12: :[[@LINE-1]]:19: error: invalid operand for instruction

v_max_num_f16_e32 v5.h, v1.h, v255.h
// GFX12: :[[@LINE-1]]:31: error: invalid operand for instruction

v_max_num_f16_e32 v5.h, v255.h, v2.h
// GFX12: :[[@LINE-1]]:25: error: invalid operand for instruction

v_max_num_f16_e32 v5.l, v1.l, v255.l
// GFX12: :[[@LINE-1]]:31: error: invalid operand for instruction

v_max_num_f16_e32 v5.l, v255.l, v2.l
// GFX12: :[[@LINE-1]]:25: error: invalid operand for instruction

v_min_num_f16_dpp v255.h, v1.h, v2.h dpp8:[7,6,5,4,3,2,1,0]
// GFX12: :[[@LINE-1]]:19: error: invalid operand for instruction

v_min_num_f16_dpp v255.h, v1.h, v2.h quad_perm:[3,2,1,0]
// GFX12: :[[@LINE-1]]:19: error: invalid operand for instruction

v_min_num_f16_dpp v255.l, v1.l, v2.l dpp8:[7,6,5,4,3,2,1,0]
// GFX12: :[[@LINE-1]]:19: error: invalid operand for instruction

v_min_num_f16_dpp v255.l, v1.l, v2.l quad_perm:[3,2,1,0]
// GFX12: :[[@LINE-1]]:19: error: invalid operand for instruction

v_min_num_f16_dpp v5.h, v1.h, v255.h dpp8:[7,6,5,4,3,2,1,0]
// GFX12: :[[@LINE-1]]:31: error: invalid operand for instruction

v_min_num_f16_dpp v5.h, v1.h, v255.h quad_perm:[3,2,1,0]
// GFX12: :[[@LINE-1]]:31: error: invalid operand for instruction

v_min_num_f16_dpp v5.h, v255.h, v2.h dpp8:[7,6,5,4,3,2,1,0]
// GFX12: :[[@LINE-1]]:25: error: invalid operand for instruction

v_min_num_f16_dpp v5.h, v255.h, v2.h quad_perm:[3,2,1,0]
// GFX12: :[[@LINE-1]]:25: error: invalid operand for instruction

v_min_num_f16_dpp v5.l, v1.l, v255.l dpp8:[7,6,5,4,3,2,1,0]
// GFX12: :[[@LINE-1]]:31: error: invalid operand for instruction

v_min_num_f16_dpp v5.l, v1.l, v255.l quad_perm:[3,2,1,0]
// GFX12: :[[@LINE-1]]:31: error: invalid operand for instruction

v_min_num_f16_dpp v5.l, v255.l, v2.l dpp8:[7,6,5,4,3,2,1,0]
// GFX12: :[[@LINE-1]]:25: error: invalid operand for instruction

v_min_num_f16_dpp v5.l, v255.l, v2.l quad_perm:[3,2,1,0]
// GFX12: :[[@LINE-1]]:25: error: invalid operand for instruction

v_min_num_f16_e32 v255.h, v1.h, v2.h
// GFX12: :[[@LINE-1]]:19: error: invalid operand for instruction

v_min_num_f16_e32 v255.l, v1.l, v2.l
// GFX12: :[[@LINE-1]]:19: error: invalid operand for instruction

v_min_num_f16_e32 v5.h, v1.h, v255.h
// GFX12: :[[@LINE-1]]:31: error: invalid operand for instruction

v_min_num_f16_e32 v5.h, v255.h, v2.h
// GFX12: :[[@LINE-1]]:25: error: invalid operand for instruction

v_min_num_f16_e32 v5.l, v1.l, v255.l
// GFX12: :[[@LINE-1]]:31: error: invalid operand for instruction

v_min_num_f16_e32 v5.l, v255.l, v2.l
// GFX12: :[[@LINE-1]]:25: error: invalid operand for instruction

v_mul_f16_dpp v255.h, v1.h, v2.h dpp8:[7,6,5,4,3,2,1,0]
// GFX12: :[[@LINE-1]]:15: error: invalid operand for instruction

v_mul_f16_dpp v255.h, v1.h, v2.h quad_perm:[3,2,1,0]
// GFX12: :[[@LINE-1]]:15: error: invalid operand for instruction

v_mul_f16_dpp v255.l, v1.l, v2.l dpp8:[7,6,5,4,3,2,1,0]
// GFX12: :[[@LINE-1]]:15: error: invalid operand for instruction

v_mul_f16_dpp v255.l, v1.l, v2.l quad_perm:[3,2,1,0]
// GFX12: :[[@LINE-1]]:15: error: invalid operand for instruction

v_mul_f16_dpp v5.h, v1.h, v255.h dpp8:[7,6,5,4,3,2,1,0]
// GFX12: :[[@LINE-1]]:27: error: invalid operand for instruction

v_mul_f16_dpp v5.h, v1.h, v255.h quad_perm:[3,2,1,0]
// GFX12: :[[@LINE-1]]:27: error: invalid operand for instruction

v_mul_f16_dpp v5.h, v255.h, v2.h dpp8:[7,6,5,4,3,2,1,0]
// GFX12: :[[@LINE-1]]:21: error: invalid operand for instruction

v_mul_f16_dpp v5.h, v255.h, v2.h quad_perm:[3,2,1,0]
// GFX12: :[[@LINE-1]]:21: error: invalid operand for instruction

v_mul_f16_dpp v5.l, v1.l, v255.l dpp8:[7,6,5,4,3,2,1,0]
// GFX12: :[[@LINE-1]]:27: error: invalid operand for instruction

v_mul_f16_dpp v5.l, v1.l, v255.l quad_perm:[3,2,1,0]
// GFX12: :[[@LINE-1]]:27: error: invalid operand for instruction

v_mul_f16_dpp v5.l, v255.l, v2.l dpp8:[7,6,5,4,3,2,1,0]
// GFX12: :[[@LINE-1]]:21: error: invalid operand for instruction

v_mul_f16_dpp v5.l, v255.l, v2.l quad_perm:[3,2,1,0]
// GFX12: :[[@LINE-1]]:21: error: invalid operand for instruction

v_mul_f16_e32 v255.h, v1.h, v2.h
// GFX12: :[[@LINE-1]]:15: error: invalid operand for instruction

v_mul_f16_e32 v255.l, v1.l, v2.l
// GFX12: :[[@LINE-1]]:15: error: invalid operand for instruction

v_mul_f16_e32 v5.h, v1.h, v255.h
// GFX12: :[[@LINE-1]]:27: error: invalid operand for instruction

v_mul_f16_e32 v5.h, v255.h, v2.h
// GFX12: :[[@LINE-1]]:21: error: invalid operand for instruction

v_mul_f16_e32 v5.l, v1.l, v255.l
// GFX12: :[[@LINE-1]]:27: error: invalid operand for instruction

v_mul_f16_e32 v5.l, v255.l, v2.l
// GFX12: :[[@LINE-1]]:21: error: invalid operand for instruction

v_sub_f16_dpp v255.h, v1.h, v2.h dpp8:[7,6,5,4,3,2,1,0]
// GFX12: :[[@LINE-1]]:15: error: invalid operand for instruction

v_sub_f16_dpp v255.h, v1.h, v2.h quad_perm:[3,2,1,0]
// GFX12: :[[@LINE-1]]:15: error: invalid operand for instruction

v_sub_f16_dpp v255.l, v1.l, v2.l dpp8:[7,6,5,4,3,2,1,0]
// GFX12: :[[@LINE-1]]:15: error: invalid operand for instruction

v_sub_f16_dpp v255.l, v1.l, v2.l quad_perm:[3,2,1,0]
// GFX12: :[[@LINE-1]]:15: error: invalid operand for instruction

v_sub_f16_dpp v5.h, v1.h, v255.h dpp8:[7,6,5,4,3,2,1,0]
// GFX12: :[[@LINE-1]]:27: error: invalid operand for instruction

v_sub_f16_dpp v5.h, v1.h, v255.h quad_perm:[3,2,1,0]
// GFX12: :[[@LINE-1]]:27: error: invalid operand for instruction

v_sub_f16_dpp v5.h, v255.h, v2.h dpp8:[7,6,5,4,3,2,1,0]
// GFX12: :[[@LINE-1]]:21: error: invalid operand for instruction

v_sub_f16_dpp v5.h, v255.h, v2.h quad_perm:[3,2,1,0]
// GFX12: :[[@LINE-1]]:21: error: invalid operand for instruction

v_sub_f16_dpp v5.l, v1.l, v255.l dpp8:[7,6,5,4,3,2,1,0]
// GFX12: :[[@LINE-1]]:27: error: invalid operand for instruction

v_sub_f16_dpp v5.l, v1.l, v255.l quad_perm:[3,2,1,0]
// GFX12: :[[@LINE-1]]:27: error: invalid operand for instruction

v_sub_f16_dpp v5.l, v255.l, v2.l dpp8:[7,6,5,4,3,2,1,0]
// GFX12: :[[@LINE-1]]:21: error: invalid operand for instruction

v_sub_f16_dpp v5.l, v255.l, v2.l quad_perm:[3,2,1,0]
// GFX12: :[[@LINE-1]]:21: error: invalid operand for instruction

v_sub_f16_e32 v255.h, v1.h, v2.h
// GFX12: :[[@LINE-1]]:15: error: invalid operand for instruction

v_sub_f16_e32 v255.l, v1.l, v2.l
// GFX12: :[[@LINE-1]]:15: error: invalid operand for instruction

v_sub_f16_e32 v5.h, v1.h, v255.h
// GFX12: :[[@LINE-1]]:27: error: invalid operand for instruction

v_sub_f16_e32 v5.h, v255.h, v2.h
// GFX12: :[[@LINE-1]]:21: error: invalid operand for instruction

v_sub_f16_e32 v5.l, v1.l, v255.l
// GFX12: :[[@LINE-1]]:27: error: invalid operand for instruction

v_sub_f16_e32 v5.l, v255.l, v2.l
// GFX12: :[[@LINE-1]]:21: error: invalid operand for instruction

v_subrev_f16_dpp v255.h, v1.h, v2.h dpp8:[7,6,5,4,3,2,1,0]
// GFX12: :[[@LINE-1]]:18: error: invalid operand for instruction

v_subrev_f16_dpp v255.h, v1.h, v2.h quad_perm:[3,2,1,0]
// GFX12: :[[@LINE-1]]:18: error: invalid operand for instruction

v_subrev_f16_dpp v255.l, v1.l, v2.l dpp8:[7,6,5,4,3,2,1,0]
// GFX12: :[[@LINE-1]]:18: error: invalid operand for instruction

v_subrev_f16_dpp v255.l, v1.l, v2.l quad_perm:[3,2,1,0]
// GFX12: :[[@LINE-1]]:18: error: invalid operand for instruction

v_subrev_f16_dpp v5.h, v1.h, v255.h dpp8:[7,6,5,4,3,2,1,0]
// GFX12: :[[@LINE-1]]:30: error: invalid operand for instruction

v_subrev_f16_dpp v5.h, v1.h, v255.h quad_perm:[3,2,1,0]
// GFX12: :[[@LINE-1]]:30: error: invalid operand for instruction

v_subrev_f16_dpp v5.h, v255.h, v2.h dpp8:[7,6,5,4,3,2,1,0]
// GFX12: :[[@LINE-1]]:24: error: invalid operand for instruction

v_subrev_f16_dpp v5.h, v255.h, v2.h quad_perm:[3,2,1,0]
// GFX12: :[[@LINE-1]]:24: error: invalid operand for instruction

v_subrev_f16_dpp v5.l, v1.l, v255.l dpp8:[7,6,5,4,3,2,1,0]
// GFX12: :[[@LINE-1]]:30: error: invalid operand for instruction

v_subrev_f16_dpp v5.l, v1.l, v255.l quad_perm:[3,2,1,0]
// GFX12: :[[@LINE-1]]:30: error: invalid operand for instruction

v_subrev_f16_dpp v5.l, v255.l, v2.l dpp8:[7,6,5,4,3,2,1,0]
// GFX12: :[[@LINE-1]]:24: error: invalid operand for instruction

v_subrev_f16_dpp v5.l, v255.l, v2.l quad_perm:[3,2,1,0]
// GFX12: :[[@LINE-1]]:24: error: invalid operand for instruction

v_subrev_f16_e32 v255.h, v1.h, v2.h
// GFX12: :[[@LINE-1]]:18: error: invalid operand for instruction

v_subrev_f16_e32 v255.l, v1.l, v2.l
// GFX12: :[[@LINE-1]]:18: error: invalid operand for instruction

v_subrev_f16_e32 v5.h, v1.h, v255.h
// GFX12: :[[@LINE-1]]:30: error: invalid operand for instruction

v_subrev_f16_e32 v5.h, v255.h, v2.h
// GFX12: :[[@LINE-1]]:24: error: invalid operand for instruction

v_subrev_f16_e32 v5.l, v1.l, v255.l
// GFX12: :[[@LINE-1]]:30: error: invalid operand for instruction

v_subrev_f16_e32 v5.l, v255.l, v2.l
// GFX12: :[[@LINE-1]]:24: error: invalid operand for instruction
